;; amdgpu-corpus repo=ROCm/rocFFT kind=compiled arch=gfx906 opt=O3
	.text
	.amdgcn_target "amdgcn-amd-amdhsa--gfx906"
	.amdhsa_code_object_version 6
	.protected	fft_rtc_fwd_len112_factors_2_4_7_2_wgs_128_tpt_8_dim3_dp_op_CI_CI_sbrc_aligned_dirReg ; -- Begin function fft_rtc_fwd_len112_factors_2_4_7_2_wgs_128_tpt_8_dim3_dp_op_CI_CI_sbrc_aligned_dirReg
	.globl	fft_rtc_fwd_len112_factors_2_4_7_2_wgs_128_tpt_8_dim3_dp_op_CI_CI_sbrc_aligned_dirReg
	.p2align	8
	.type	fft_rtc_fwd_len112_factors_2_4_7_2_wgs_128_tpt_8_dim3_dp_op_CI_CI_sbrc_aligned_dirReg,@function
fft_rtc_fwd_len112_factors_2_4_7_2_wgs_128_tpt_8_dim3_dp_op_CI_CI_sbrc_aligned_dirReg: ; @fft_rtc_fwd_len112_factors_2_4_7_2_wgs_128_tpt_8_dim3_dp_op_CI_CI_sbrc_aligned_dirReg
; %bb.0:
	s_load_dwordx8 s[8:15], s[4:5], 0x0
	s_load_dwordx2 s[20:21], s[4:5], 0x50
	s_waitcnt lgkmcnt(0)
	s_load_dwordx4 s[16:19], s[10:11], 0x8
	s_waitcnt lgkmcnt(0)
	s_mov_b32 s17, 0
	s_add_i32 s0, s16, -1
	s_lshr_b32 s7, s0, 4
	s_add_i32 s7, s7, 1
	v_cvt_f32_u32_e32 v1, s7
	s_sub_i32 s0, 0, s7
	v_rcp_iflag_f32_e32 v1, v1
	v_mul_f32_e32 v1, 0x4f7ffffe, v1
	v_cvt_u32_f32_e32 v3, v1
	v_mov_b32_e32 v1, s18
	v_mov_b32_e32 v2, s19
	v_readfirstlane_b32 s1, v3
	s_mul_i32 s0, s0, s1
	s_mul_hi_u32 s0, s1, s0
	s_add_i32 s1, s1, s0
	s_mul_hi_u32 s0, s6, s1
	s_mul_i32 s1, s0, s7
	s_sub_i32 s1, s6, s1
	s_add_i32 s2, s0, 1
	s_sub_i32 s3, s1, s7
	s_cmp_ge_u32 s1, s7
	s_cselect_b32 s0, s2, s0
	s_cselect_b32 s1, s3, s1
	s_add_i32 s2, s0, 1
	s_cmp_ge_u32 s1, s7
	s_cselect_b32 s16, s2, s0
	s_load_dwordx4 s[0:3], s[12:13], 0x0
	v_cmp_lt_u64_e32 vcc, s[16:17], v[1:2]
	s_mov_b64 s[10:11], s[16:17]
	s_cbranch_vccnz .LBB0_2
; %bb.1:
	v_cvt_f32_u32_e32 v1, s18
	s_waitcnt lgkmcnt(0)
	s_sub_i32 s3, 0, s18
	v_rcp_iflag_f32_e32 v1, v1
	v_mul_f32_e32 v1, 0x4f7ffffe, v1
	v_cvt_u32_f32_e32 v1, v1
	v_readfirstlane_b32 s10, v1
	s_mul_i32 s3, s3, s10
	s_mul_hi_u32 s3, s10, s3
	s_add_i32 s10, s10, s3
	s_mul_hi_u32 s3, s16, s10
	s_mul_i32 s3, s3, s18
	s_sub_i32 s3, s16, s3
	s_sub_i32 s10, s3, s18
	s_cmp_ge_u32 s3, s18
	s_cselect_b32 s3, s10, s3
	s_sub_i32 s10, s3, s18
	s_cmp_ge_u32 s3, s18
	s_cselect_b32 s10, s10, s3
.LBB0_2:
	s_waitcnt lgkmcnt(0)
	s_mul_i32 s3, s16, s7
	s_mul_i32 s7, s7, s18
	v_cvt_f32_u32_e32 v1, s7
	s_load_dwordx4 s[24:27], s[12:13], 0x10
	s_sub_i32 s3, s6, s3
	s_lshl_b32 s11, s3, 4
	v_rcp_iflag_f32_e32 v1, v1
	s_mul_i32 s16, s11, s2
	s_waitcnt lgkmcnt(0)
	s_mul_i32 s3, s25, s10
	s_mul_hi_u32 s12, s24, s10
	v_mul_f32_e32 v1, 0x4f7ffffe, v1
	v_cvt_u32_f32_e32 v1, v1
	s_add_i32 s13, s12, s3
	s_sub_i32 s3, 0, s7
	s_mul_i32 s12, s24, s10
	v_readfirstlane_b32 s18, v1
	s_mul_i32 s3, s3, s18
	s_mul_hi_u32 s3, s18, s3
	s_add_i32 s18, s18, s3
	s_mul_hi_u32 s3, s6, s18
	s_mul_i32 s18, s3, s7
	s_sub_i32 s6, s6, s18
	s_add_i32 s18, s3, 1
	s_sub_i32 s19, s6, s7
	v_mul_u32_u24_e32 v1, 0x24a, v0
	s_cmp_ge_u32 s6, s7
	v_lshrrev_b32_e32 v3, 16, v1
	s_cselect_b32 s3, s18, s3
	v_mul_lo_u16_e32 v1, 0x70, v3
	s_cselect_b32 s6, s19, s6
	s_add_i32 s18, s3, 1
	v_sub_u16_e32 v4, v0, v1
	s_cmp_ge_u32 s6, s7
	v_mad_u64_u32 v[5:6], s[6:7], s0, v4, 0
	s_cselect_b32 s33, s18, s3
	s_mul_i32 s3, s27, s33
	v_mov_b32_e32 v1, v6
	v_mad_u64_u32 v[1:2], s[6:7], s1, v4, v[1:2]
	s_mul_hi_u32 s18, s26, s33
	s_add_i32 s7, s18, s3
	s_mul_i32 s6, s26, s33
	v_mov_b32_e32 v6, v1
	s_lshl_b64 s[6:7], s[6:7], 4
	s_movk_i32 s18, 0x24a
	s_add_u32 s3, s20, s6
	v_lshlrev_b64 v[7:8], 4, v[5:6]
	v_or_b32_e32 v6, 0x80, v0
	s_addc_u32 s19, s21, s7
	s_lshl_b64 s[6:7], s[12:13], 4
	v_mul_u32_u24_sdwa v5, v6, s18 dst_sel:DWORD dst_unused:UNUSED_PAD src0_sel:WORD_0 src1_sel:DWORD
	s_add_u32 s3, s3, s6
	v_lshrrev_b32_e32 v5, 16, v5
	s_addc_u32 s12, s19, s7
	s_lshl_b64 s[6:7], s[16:17], 4
	v_mul_lo_u16_e32 v9, 0x70, v5
	s_add_u32 s3, s3, s6
	v_sub_u16_e32 v6, v6, v9
	v_mul_lo_u32 v1, s2, v3
	s_addc_u32 s6, s12, s7
	v_mad_u64_u32 v[9:10], s[12:13], s0, v6, 0
	v_mov_b32_e32 v2, 0
	v_mov_b32_e32 v11, s6
	v_add_co_u32_e32 v12, vcc, s3, v7
	v_addc_co_u32_e32 v13, vcc, v11, v8, vcc
	v_lshlrev_b64 v[7:8], 4, v[1:2]
	v_mov_b32_e32 v1, v10
	v_mad_u64_u32 v[10:11], s[12:13], s1, v6, v[1:2]
	v_add_co_u32_e32 v15, vcc, v12, v7
	v_mul_lo_u32 v1, s2, v5
	v_addc_co_u32_e32 v16, vcc, v13, v8, vcc
	v_lshlrev_b64 v[7:8], 4, v[9:10]
	v_mov_b32_e32 v9, s6
	v_add_co_u32_e32 v10, vcc, s3, v7
	v_addc_co_u32_e32 v9, vcc, v9, v8, vcc
	v_lshlrev_b64 v[7:8], 4, v[1:2]
	v_or_b32_e32 v1, 0x100, v0
	v_add_co_u32_e32 v17, vcc, v10, v7
	v_mul_u32_u24_sdwa v7, v1, s18 dst_sel:DWORD dst_unused:UNUSED_PAD src0_sel:WORD_0 src1_sel:DWORD
	v_lshrrev_b32_e32 v63, 16, v7
	v_mul_lo_u16_e32 v7, 0x70, v63
	v_sub_u16_e32 v64, v1, v7
	v_mad_u64_u32 v[19:20], s[12:13], s0, v64, 0
	v_addc_co_u32_e32 v18, vcc, v9, v8, vcc
	global_load_dwordx4 v[7:10], v[15:16], off
	global_load_dwordx4 v[11:14], v[17:18], off
	v_or_b32_e32 v17, 0x180, v0
	v_mov_b32_e32 v1, v20
	v_mul_u32_u24_sdwa v18, v17, s18 dst_sel:DWORD dst_unused:UNUSED_PAD src0_sel:WORD_0 src1_sel:DWORD
	v_mad_u64_u32 v[15:16], s[12:13], s1, v64, v[1:2]
	v_lshrrev_b32_e32 v65, 16, v18
	v_mul_lo_u16_e32 v18, 0x70, v65
	v_sub_u16_e32 v66, v17, v18
	v_mul_lo_u32 v1, s2, v63
	v_mov_b32_e32 v20, v15
	v_mad_u64_u32 v[17:18], s[12:13], s0, v66, 0
	v_lshlrev_b64 v[15:16], 4, v[19:20]
	v_mov_b32_e32 v19, s6
	v_add_co_u32_e32 v20, vcc, s3, v15
	v_addc_co_u32_e32 v21, vcc, v19, v16, vcc
	v_lshlrev_b64 v[15:16], 4, v[1:2]
	v_mov_b32_e32 v1, v18
	v_mad_u64_u32 v[18:19], s[12:13], s1, v66, v[1:2]
	v_add_co_u32_e32 v23, vcc, v20, v15
	v_addc_co_u32_e32 v24, vcc, v21, v16, vcc
	v_lshlrev_b64 v[15:16], 4, v[17:18]
	v_or_b32_e32 v18, 0x200, v0
	s_movk_i32 s7, 0x493
	v_mul_u32_u24_sdwa v19, v18, s7 dst_sel:DWORD dst_unused:UNUSED_PAD src0_sel:WORD_0 src1_sel:DWORD
	v_lshrrev_b32_e32 v67, 17, v19
	v_mul_lo_u16_e32 v19, 0x70, v67
	v_sub_u16_e32 v68, v18, v19
	v_mul_lo_u32 v1, s2, v65
	v_mad_u64_u32 v[25:26], s[12:13], s0, v68, 0
	v_mov_b32_e32 v17, s6
	v_add_co_u32_e32 v18, vcc, s3, v15
	v_addc_co_u32_e32 v17, vcc, v17, v16, vcc
	v_lshlrev_b64 v[15:16], 4, v[1:2]
	v_mov_b32_e32 v1, v26
	v_mad_u64_u32 v[26:27], s[12:13], s1, v68, v[1:2]
	v_add_co_u32_e32 v27, vcc, v18, v15
	v_addc_co_u32_e32 v28, vcc, v17, v16, vcc
	global_load_dwordx4 v[15:18], v[23:24], off
	global_load_dwordx4 v[19:22], v[27:28], off
	v_lshlrev_b64 v[23:24], 4, v[25:26]
	v_or_b32_e32 v25, 0x280, v0
	v_mul_u32_u24_sdwa v26, v25, s7 dst_sel:DWORD dst_unused:UNUSED_PAD src0_sel:WORD_0 src1_sel:DWORD
	v_lshrrev_b32_e32 v69, 17, v26
	v_mul_lo_u16_e32 v26, 0x70, v69
	v_sub_u16_e32 v70, v25, v26
	v_mul_lo_u32 v1, s2, v67
	v_mad_u64_u32 v[25:26], s[12:13], s0, v70, 0
	v_mov_b32_e32 v27, s6
	v_add_co_u32_e32 v28, vcc, s3, v23
	v_addc_co_u32_e32 v29, vcc, v27, v24, vcc
	v_lshlrev_b64 v[23:24], 4, v[1:2]
	v_mov_b32_e32 v1, v26
	v_mad_u64_u32 v[26:27], s[12:13], s1, v70, v[1:2]
	v_add_co_u32_e32 v31, vcc, v28, v23
	v_addc_co_u32_e32 v32, vcc, v29, v24, vcc
	v_lshlrev_b64 v[23:24], 4, v[25:26]
	v_or_b32_e32 v26, 0x300, v0
	v_mul_u32_u24_sdwa v27, v26, s7 dst_sel:DWORD dst_unused:UNUSED_PAD src0_sel:WORD_0 src1_sel:DWORD
	v_lshrrev_b32_e32 v71, 17, v27
	v_mul_lo_u16_e32 v27, 0x70, v71
	v_sub_u16_e32 v72, v26, v27
	v_mul_lo_u32 v1, s2, v69
	v_mad_u64_u32 v[33:34], s[12:13], s0, v72, 0
	v_mov_b32_e32 v25, s6
	v_add_co_u32_e32 v26, vcc, s3, v23
	v_addc_co_u32_e32 v25, vcc, v25, v24, vcc
	v_lshlrev_b64 v[23:24], 4, v[1:2]
	v_mov_b32_e32 v1, v34
	v_mad_u64_u32 v[34:35], s[12:13], s1, v72, v[1:2]
	v_add_co_u32_e32 v35, vcc, v26, v23
	v_addc_co_u32_e32 v36, vcc, v25, v24, vcc
	global_load_dwordx4 v[23:26], v[31:32], off
	global_load_dwordx4 v[27:30], v[35:36], off
	v_lshlrev_b64 v[31:32], 4, v[33:34]
	v_or_b32_e32 v33, 0x380, v0
	v_mul_u32_u24_sdwa v34, v33, s7 dst_sel:DWORD dst_unused:UNUSED_PAD src0_sel:WORD_0 src1_sel:DWORD
	v_lshrrev_b32_e32 v73, 17, v34
	v_mul_lo_u16_e32 v34, 0x70, v73
	v_sub_u16_e32 v74, v33, v34
	v_mul_lo_u32 v1, s2, v71
	v_mad_u64_u32 v[33:34], s[12:13], s0, v74, 0
	v_mov_b32_e32 v35, s6
	v_add_co_u32_e32 v36, vcc, s3, v31
	v_addc_co_u32_e32 v37, vcc, v35, v32, vcc
	v_lshlrev_b64 v[31:32], 4, v[1:2]
	v_mov_b32_e32 v1, v34
	v_mad_u64_u32 v[34:35], s[12:13], s1, v74, v[1:2]
	v_add_co_u32_e32 v39, vcc, v36, v31
	v_addc_co_u32_e32 v40, vcc, v37, v32, vcc
	v_lshlrev_b64 v[31:32], 4, v[33:34]
	v_or_b32_e32 v34, 0x400, v0
	s_movk_i32 s7, 0x925
	v_mul_u32_u24_sdwa v35, v34, s7 dst_sel:DWORD dst_unused:UNUSED_PAD src0_sel:WORD_0 src1_sel:DWORD
	v_lshrrev_b32_e32 v75, 18, v35
	v_mul_lo_u16_e32 v35, 0x70, v75
	v_sub_u16_e32 v76, v34, v35
	v_mul_lo_u32 v1, s2, v73
	v_mad_u64_u32 v[41:42], s[12:13], s0, v76, 0
	v_mov_b32_e32 v33, s6
	v_add_co_u32_e32 v34, vcc, s3, v31
	v_addc_co_u32_e32 v33, vcc, v33, v32, vcc
	v_lshlrev_b64 v[31:32], 4, v[1:2]
	v_mov_b32_e32 v1, v42
	v_mad_u64_u32 v[42:43], s[12:13], s1, v76, v[1:2]
	v_add_co_u32_e32 v43, vcc, v34, v31
	v_addc_co_u32_e32 v44, vcc, v33, v32, vcc
	global_load_dwordx4 v[31:34], v[39:40], off
	global_load_dwordx4 v[35:38], v[43:44], off
	v_lshlrev_b64 v[39:40], 4, v[41:42]
	v_or_b32_e32 v41, 0x480, v0
	v_mul_u32_u24_sdwa v42, v41, s7 dst_sel:DWORD dst_unused:UNUSED_PAD src0_sel:WORD_0 src1_sel:DWORD
	v_lshrrev_b32_e32 v77, 18, v42
	v_mul_lo_u16_e32 v42, 0x70, v77
	v_sub_u16_e32 v78, v41, v42
	v_mul_lo_u32 v1, s2, v75
	v_mad_u64_u32 v[41:42], s[12:13], s0, v78, 0
	v_mov_b32_e32 v43, s6
	v_add_co_u32_e32 v44, vcc, s3, v39
	v_addc_co_u32_e32 v45, vcc, v43, v40, vcc
	v_lshlrev_b64 v[39:40], 4, v[1:2]
	v_mov_b32_e32 v1, v42
	v_mad_u64_u32 v[42:43], s[12:13], s1, v78, v[1:2]
	v_add_co_u32_e32 v47, vcc, v44, v39
	v_addc_co_u32_e32 v48, vcc, v45, v40, vcc
	v_lshlrev_b64 v[39:40], 4, v[41:42]
	v_or_b32_e32 v42, 0x500, v0
	v_mul_u32_u24_sdwa v43, v42, s7 dst_sel:DWORD dst_unused:UNUSED_PAD src0_sel:WORD_0 src1_sel:DWORD
	v_lshrrev_b32_e32 v79, 18, v43
	v_mul_lo_u16_e32 v43, 0x70, v79
	v_sub_u16_e32 v80, v42, v43
	v_mul_lo_u32 v1, s2, v77
	v_mad_u64_u32 v[49:50], s[12:13], s0, v80, 0
	v_mov_b32_e32 v41, s6
	v_add_co_u32_e32 v42, vcc, s3, v39
	v_addc_co_u32_e32 v41, vcc, v41, v40, vcc
	v_lshlrev_b64 v[39:40], 4, v[1:2]
	v_mov_b32_e32 v1, v50
	v_mad_u64_u32 v[50:51], s[12:13], s1, v80, v[1:2]
	v_add_co_u32_e32 v51, vcc, v42, v39
	v_addc_co_u32_e32 v52, vcc, v41, v40, vcc
	global_load_dwordx4 v[39:42], v[47:48], off
	global_load_dwordx4 v[43:46], v[51:52], off
	v_lshlrev_b64 v[47:48], 4, v[49:50]
	v_or_b32_e32 v49, 0x580, v0
	v_mul_u32_u24_sdwa v50, v49, s7 dst_sel:DWORD dst_unused:UNUSED_PAD src0_sel:WORD_0 src1_sel:DWORD
	v_lshrrev_b32_e32 v81, 18, v50
	v_mul_lo_u16_e32 v50, 0x70, v81
	v_sub_u16_e32 v82, v49, v50
	v_mul_lo_u32 v1, s2, v79
	v_mad_u64_u32 v[49:50], s[12:13], s0, v82, 0
	v_mov_b32_e32 v51, s6
	v_add_co_u32_e32 v52, vcc, s3, v47
	v_addc_co_u32_e32 v53, vcc, v51, v48, vcc
	v_lshlrev_b64 v[47:48], 4, v[1:2]
	v_mov_b32_e32 v1, v50
	v_mad_u64_u32 v[50:51], s[12:13], s1, v82, v[1:2]
	v_add_co_u32_e32 v55, vcc, v52, v47
	v_addc_co_u32_e32 v56, vcc, v53, v48, vcc
	v_lshlrev_b64 v[47:48], 4, v[49:50]
	v_or_b32_e32 v50, 0x600, v0
	v_mul_u32_u24_sdwa v51, v50, s7 dst_sel:DWORD dst_unused:UNUSED_PAD src0_sel:WORD_0 src1_sel:DWORD
	v_lshrrev_b32_e32 v83, 18, v51
	v_mul_lo_u16_e32 v51, 0x70, v83
	v_sub_u16_e32 v84, v50, v51
	v_mul_lo_u32 v1, s2, v81
	v_mad_u64_u32 v[57:58], s[12:13], s0, v84, 0
	v_mov_b32_e32 v49, s6
	v_add_co_u32_e32 v50, vcc, s3, v47
	v_addc_co_u32_e32 v49, vcc, v49, v48, vcc
	v_lshlrev_b64 v[47:48], 4, v[1:2]
	v_mov_b32_e32 v1, v58
	v_mad_u64_u32 v[58:59], s[12:13], s1, v84, v[1:2]
	v_add_co_u32_e32 v59, vcc, v50, v47
	v_addc_co_u32_e32 v60, vcc, v49, v48, vcc
	global_load_dwordx4 v[47:50], v[55:56], off
	global_load_dwordx4 v[51:54], v[59:60], off
	v_lshlrev_b64 v[55:56], 4, v[57:58]
	v_or_b32_e32 v58, 0x680, v0
	v_mul_u32_u24_sdwa v59, v58, s7 dst_sel:DWORD dst_unused:UNUSED_PAD src0_sel:WORD_0 src1_sel:DWORD
	v_lshrrev_b32_e32 v85, 18, v59
	v_mul_lo_u16_e32 v59, 0x70, v85
	v_sub_u16_e32 v86, v58, v59
	v_mul_lo_u32 v1, s2, v83
	v_mad_u64_u32 v[59:60], s[12:13], s0, v86, 0
	v_mov_b32_e32 v57, s6
	v_add_co_u32_e32 v58, vcc, s3, v55
	v_addc_co_u32_e32 v57, vcc, v57, v56, vcc
	v_lshlrev_b64 v[55:56], 4, v[1:2]
	v_mov_b32_e32 v1, v60
	v_mad_u64_u32 v[60:61], s[0:1], s1, v86, v[1:2]
	v_mul_lo_u32 v1, s2, v85
	v_add_co_u32_e32 v55, vcc, v58, v55
	v_lshlrev_b64 v[59:60], 4, v[59:60]
	v_addc_co_u32_e32 v56, vcc, v57, v56, vcc
	global_load_dwordx4 v[55:58], v[55:56], off
	v_mov_b32_e32 v61, s6
	v_add_co_u32_e32 v59, vcc, s3, v59
	v_lshlrev_b64 v[1:2], 4, v[1:2]
	v_addc_co_u32_e32 v60, vcc, v61, v60, vcc
	v_add_co_u32_e32 v1, vcc, v59, v1
	v_addc_co_u32_e32 v2, vcc, v60, v2, vcc
	global_load_dwordx4 v[59:62], v[1:2], off
	v_lshlrev_b16_e32 v1, 4, v4
	v_or_b32_e32 v1, v1, v3
	v_lshlrev_b16_e32 v2, 4, v6
	v_and_b32_e32 v1, 0xffff, v1
	v_or_b32_e32 v2, v2, v5
	v_lshl_add_u32 v1, v1, 4, 0
	v_and_b32_e32 v2, 0xffff, v2
	v_lshl_add_u32 v2, v2, 4, 0
	s_waitcnt vmcnt(13)
	ds_write_b128 v1, v[7:10]
	s_waitcnt vmcnt(12)
	ds_write_b128 v2, v[11:14]
	v_lshlrev_b16_e32 v1, 4, v64
	v_or_b32_e32 v1, v1, v63
	v_and_b32_e32 v1, 0xffff, v1
	v_lshl_add_u32 v1, v1, 4, 0
	s_waitcnt vmcnt(11)
	ds_write_b128 v1, v[15:18]
	v_lshlrev_b16_e32 v1, 4, v66
	v_or_b32_e32 v1, v1, v65
	v_and_b32_e32 v1, 0xffff, v1
	v_lshl_add_u32 v1, v1, 4, 0
	;; [unrolled: 6-line block ×11, first 2 shown]
	v_and_b32_e32 v77, 15, v0
	v_lshrrev_b32_e32 v81, 4, v0
	v_lshlrev_b32_e32 v78, 4, v77
	s_load_dwordx8 s[12:19], s[14:15], 0x0
	v_or_b32_e32 v84, 16, v81
	s_waitcnt vmcnt(1)
	ds_write_b128 v1, v[55:58]
	v_lshlrev_b16_e32 v1, 4, v86
	v_or_b32_e32 v1, v1, v85
	v_and_b32_e32 v1, 0xffff, v1
	v_lshlrev_b32_e32 v57, 8, v81
	v_lshl_add_u32 v1, v1, 4, 0
	v_add3_u32 v87, 0, v57, v78
	v_add_u32_e32 v57, v87, v57
	v_or_b32_e32 v85, 8, v81
	v_or_b32_e32 v83, 24, v81
	;; [unrolled: 1-line block ×3, first 2 shown]
	s_waitcnt vmcnt(0)
	ds_write_b128 v1, v[59:62]
	s_waitcnt lgkmcnt(0)
	s_barrier
	ds_read_b128 v[1:4], v87 offset:14336
	ds_read_b128 v[5:8], v87
	ds_read_b128 v[9:12], v87 offset:2048
	ds_read_b128 v[13:16], v87 offset:12288
	;; [unrolled: 1-line block ×12, first 2 shown]
	s_waitcnt lgkmcnt(0)
	v_add_f64 v[1:2], v[5:6], -v[1:2]
	v_add_f64 v[3:4], v[7:8], -v[3:4]
	;; [unrolled: 1-line block ×4, first 2 shown]
	s_barrier
	v_or_b32_e32 v80, 40, v81
	v_or_b32_e32 v79, 48, v81
	v_fma_f64 v[5:6], v[5:6], 2.0, -v[1:2]
	v_fma_f64 v[7:8], v[7:8], 2.0, -v[3:4]
	ds_write_b128 v57, v[1:4] offset:256
	v_fma_f64 v[1:2], v[9:10], 2.0, -v[17:18]
	v_fma_f64 v[3:4], v[11:12], 2.0, -v[19:20]
	v_lshlrev_b32_e32 v9, 9, v85
	s_load_dwordx2 s[0:1], s[4:5], 0x58
	v_cmp_gt_u32_e32 vcc, 64, v0
	v_lshlrev_b32_e32 v90, 8, v83
	ds_write_b128 v57, v[5:8]
	v_add_f64 v[5:6], v[25:26], -v[21:22]
	v_add_f64 v[7:8], v[27:28], -v[23:24]
	v_add3_u32 v57, 0, v9, v78
	v_add_f64 v[21:22], v[29:30], -v[33:34]
	v_add_f64 v[23:24], v[31:32], -v[35:36]
	ds_write_b128 v57, v[1:4]
	ds_write_b128 v57, v[17:20] offset:256
	v_lshlrev_b32_e32 v1, 9, v84
	v_add3_u32 v17, 0, v1, v78
	v_fma_f64 v[9:10], v[25:26], 2.0, -v[5:6]
	v_fma_f64 v[11:12], v[27:28], 2.0, -v[7:8]
	ds_write_b128 v17, v[5:8] offset:256
	v_fma_f64 v[1:2], v[29:30], 2.0, -v[21:22]
	v_fma_f64 v[3:4], v[31:32], 2.0, -v[23:24]
	v_lshlrev_b32_e32 v5, 9, v83
	v_add_f64 v[19:20], v[47:48], -v[51:52]
	v_add3_u32 v5, 0, v5, v78
	v_add_f64 v[7:8], v[15:16], -v[55:56]
	ds_write_b128 v17, v[9:12]
	v_add_f64 v[9:10], v[41:42], -v[37:38]
	v_add_f64 v[11:12], v[43:44], -v[39:40]
	v_add_f64 v[17:18], v[45:46], -v[49:50]
	ds_write_b128 v5, v[1:4]
	ds_write_b128 v5, v[21:24] offset:256
	v_add_f64 v[5:6], v[13:14], -v[53:54]
	v_lshlrev_b32_e32 v21, 9, v82
	v_add3_u32 v25, 0, v21, v78
	v_fma_f64 v[23:24], v[47:48], 2.0, -v[19:20]
	v_fma_f64 v[1:2], v[41:42], 2.0, -v[9:10]
	;; [unrolled: 1-line block ×4, first 2 shown]
	ds_write_b128 v25, v[9:12] offset:256
	v_lshlrev_b32_e32 v9, 9, v80
	v_add3_u32 v9, 0, v9, v78
                                        ; implicit-def: $vgpr11_vgpr12
	ds_write_b128 v25, v[1:4]
	v_fma_f64 v[1:2], v[13:14], 2.0, -v[5:6]
	v_fma_f64 v[3:4], v[15:16], 2.0, -v[7:8]
	ds_write_b128 v9, v[21:24]
	ds_write_b128 v9, v[17:20] offset:256
	v_lshlrev_b32_e32 v9, 9, v79
	v_add3_u32 v9, 0, v9, v78
	ds_write_b128 v9, v[1:4]
	ds_write_b128 v9, v[5:8] offset:256
	v_and_b32_e32 v9, 0x70, v0
	v_lshlrev_b32_e32 v9, 4, v9
	v_add3_u32 v86, 0, v9, v78
	v_lshlrev_b32_e32 v9, 8, v85
	v_add3_u32 v88, 0, v9, v78
	v_lshlrev_b32_e32 v9, 8, v84
	s_waitcnt lgkmcnt(0)
	s_barrier
	v_add3_u32 v89, 0, v9, v78
	ds_read_b128 v[25:28], v86
	ds_read_b128 v[73:76], v86 offset:7168
	ds_read_b128 v[65:68], v86 offset:14336
	;; [unrolled: 1-line block ×3, first 2 shown]
	ds_read_b128 v[21:24], v88
	ds_read_b128 v[17:20], v89
	ds_read_b128 v[61:64], v86 offset:9216
	ds_read_b128 v[37:40], v86 offset:11264
	;; [unrolled: 1-line block ×6, first 2 shown]
                                        ; implicit-def: $vgpr15_vgpr16
	s_and_saveexec_b64 s[2:3], vcc
	s_cbranch_execz .LBB0_4
; %bb.3:
	v_add3_u32 v1, 0, v90, v78
	ds_read_b128 v[5:8], v86 offset:13312
	ds_read_b128 v[9:12], v86 offset:20480
	ds_read_b128 v[1:4], v1
	ds_read_b128 v[13:16], v86 offset:27648
.LBB0_4:
	s_or_b64 exec, exec, s[2:3]
	v_bfe_u32 v91, v0, 4, 1
	v_mul_u32_u24_e32 v41, 3, v91
	v_lshlrev_b32_e32 v92, 4, v41
	global_load_dwordx4 v[49:52], v92, s[8:9]
	global_load_dwordx4 v[45:48], v92, s[8:9] offset:16
	global_load_dwordx4 v[41:44], v92, s[8:9] offset:32
	v_lshl_or_b32 v98, v84, 2, v81
	v_and_b32_e32 v98, 0x79, v98
	v_lshlrev_b32_e32 v98, 8, v98
	v_add3_u32 v102, 0, v98, v78
	s_waitcnt vmcnt(0) lgkmcnt(0)
	s_barrier
	v_mul_f64 v[92:93], v[75:76], v[51:52]
	v_mul_f64 v[94:95], v[73:74], v[51:52]
	;; [unrolled: 1-line block ×3, first 2 shown]
	v_fma_f64 v[73:74], v[73:74], v[49:50], -v[92:93]
	v_mul_f64 v[92:93], v[65:66], v[47:48]
	v_fma_f64 v[75:76], v[75:76], v[49:50], v[94:95]
	v_mul_f64 v[94:95], v[71:72], v[43:44]
	v_fma_f64 v[65:66], v[65:66], v[45:46], -v[96:97]
	v_mul_f64 v[96:97], v[63:64], v[51:52]
	v_fma_f64 v[67:68], v[67:68], v[45:46], v[92:93]
	v_mul_f64 v[92:93], v[69:70], v[43:44]
	v_fma_f64 v[69:70], v[69:70], v[41:42], -v[94:95]
	v_mul_f64 v[94:95], v[55:56], v[47:48]
	v_add_f64 v[65:66], v[25:26], -v[65:66]
	v_add_f64 v[67:68], v[27:28], -v[67:68]
	v_fma_f64 v[71:72], v[71:72], v[41:42], v[92:93]
	v_mul_f64 v[92:93], v[61:62], v[51:52]
	v_fma_f64 v[61:62], v[61:62], v[49:50], -v[96:97]
	v_mul_f64 v[96:97], v[59:60], v[43:44]
	v_add_f64 v[69:70], v[73:74], -v[69:70]
	v_fma_f64 v[98:99], v[27:28], 2.0, -v[67:68]
	v_add_f64 v[71:72], v[75:76], -v[71:72]
	v_fma_f64 v[63:64], v[63:64], v[49:50], v[92:93]
	v_mul_f64 v[92:93], v[53:54], v[47:48]
	v_fma_f64 v[53:54], v[53:54], v[45:46], -v[94:95]
	v_mul_f64 v[94:95], v[39:40], v[51:52]
	v_add_f64 v[27:28], v[67:68], v[69:70]
	v_fma_f64 v[55:56], v[55:56], v[45:46], v[92:93]
	v_mul_f64 v[92:93], v[57:58], v[43:44]
	v_fma_f64 v[57:58], v[57:58], v[41:42], -v[96:97]
	v_add_f64 v[53:54], v[21:22], -v[53:54]
	v_lshl_or_b32 v96, v81, 2, v81
	v_lshl_or_b32 v97, v85, 2, v81
	v_and_b32_e32 v96, 25, v96
	v_and_b32_e32 v97, 57, v97
	v_add_f64 v[55:56], v[23:24], -v[55:56]
	v_fma_f64 v[59:60], v[59:60], v[41:42], v[92:93]
	v_mul_f64 v[92:93], v[37:38], v[51:52]
	v_fma_f64 v[37:38], v[37:38], v[49:50], -v[94:95]
	v_mul_f64 v[94:95], v[33:34], v[47:48]
	v_add_f64 v[57:58], v[61:62], -v[57:58]
	v_lshlrev_b32_e32 v96, 8, v96
	v_lshlrev_b32_e32 v97, 8, v97
	v_add3_u32 v100, 0, v96, v78
	v_add_f64 v[59:60], v[63:64], -v[59:60]
	v_fma_f64 v[39:40], v[39:40], v[49:50], v[92:93]
	v_mul_f64 v[92:93], v[35:36], v[47:48]
	v_fma_f64 v[35:36], v[35:36], v[45:46], v[94:95]
	v_mul_f64 v[94:95], v[29:30], v[43:44]
	v_add3_u32 v101, 0, v97, v78
	v_fma_f64 v[96:97], v[25:26], 2.0, -v[65:66]
	v_add_f64 v[25:26], v[65:66], -v[71:72]
	v_fma_f64 v[61:62], v[61:62], 2.0, -v[57:58]
	v_fma_f64 v[63:64], v[63:64], 2.0, -v[59:60]
	v_fma_f64 v[33:34], v[33:34], v[45:46], -v[92:93]
	v_mul_f64 v[92:93], v[31:32], v[43:44]
	v_fma_f64 v[31:32], v[31:32], v[41:42], v[94:95]
	v_add_f64 v[94:95], v[19:20], -v[35:36]
	v_fma_f64 v[35:36], v[75:76], 2.0, -v[71:72]
	v_fma_f64 v[71:72], v[23:24], 2.0, -v[55:56]
	v_add_f64 v[23:24], v[55:56], v[57:58]
	ds_write_b128 v100, v[25:28] offset:1536
	v_fma_f64 v[29:30], v[29:30], v[41:42], -v[92:93]
	v_add_f64 v[92:93], v[17:18], -v[33:34]
	v_add_f64 v[31:32], v[39:40], -v[31:32]
	v_fma_f64 v[33:34], v[73:74], 2.0, -v[69:70]
	v_fma_f64 v[69:70], v[21:22], 2.0, -v[53:54]
	v_add_f64 v[21:22], v[53:54], -v[59:60]
	v_fma_f64 v[75:76], v[19:20], 2.0, -v[94:95]
	v_fma_f64 v[55:56], v[55:56], 2.0, -v[23:24]
	;; [unrolled: 3-line block ×3, first 2 shown]
	v_add_f64 v[17:18], v[92:93], -v[31:32]
	v_add_f64 v[31:32], v[98:99], -v[35:36]
	;; [unrolled: 1-line block ×3, first 2 shown]
	v_fma_f64 v[35:36], v[67:68], 2.0, -v[27:28]
	v_fma_f64 v[53:54], v[53:54], 2.0, -v[21:22]
	;; [unrolled: 1-line block ×3, first 2 shown]
	v_add_f64 v[19:20], v[94:95], v[29:30]
	v_add_f64 v[29:30], v[96:97], -v[33:34]
	v_add_f64 v[37:38], v[69:70], -v[61:62]
	;; [unrolled: 1-line block ×3, first 2 shown]
	v_fma_f64 v[33:34], v[65:66], 2.0, -v[25:26]
	v_fma_f64 v[67:68], v[98:99], 2.0, -v[31:32]
	;; [unrolled: 1-line block ×3, first 2 shown]
	v_add_f64 v[57:58], v[73:74], -v[57:58]
	v_fma_f64 v[61:62], v[92:93], 2.0, -v[17:18]
	v_fma_f64 v[65:66], v[96:97], 2.0, -v[29:30]
	;; [unrolled: 1-line block ×6, first 2 shown]
	ds_write_b128 v100, v[33:36] offset:512
	ds_write_b128 v100, v[29:32] offset:1024
	ds_write_b128 v100, v[65:68]
	ds_write_b128 v101, v[69:72]
	ds_write_b128 v101, v[53:56] offset:512
	ds_write_b128 v101, v[37:40] offset:1024
	ds_write_b128 v101, v[21:24] offset:1536
	ds_write_b128 v102, v[25:28]
	ds_write_b128 v102, v[61:64] offset:512
	ds_write_b128 v102, v[57:60] offset:1024
	;; [unrolled: 1-line block ×3, first 2 shown]
	s_and_saveexec_b64 s[2:3], vcc
	s_cbranch_execz .LBB0_6
; %bb.5:
	v_mul_f64 v[17:18], v[9:10], v[47:48]
	v_mul_f64 v[19:20], v[7:8], v[51:52]
	;; [unrolled: 1-line block ×6, first 2 shown]
	s_movk_i32 s4, 0x68
	v_fma_f64 v[11:12], v[11:12], v[45:46], v[17:18]
	v_fma_f64 v[5:6], v[5:6], v[49:50], -v[19:20]
	v_fma_f64 v[7:8], v[7:8], v[49:50], v[21:22]
	v_fma_f64 v[15:16], v[15:16], v[41:42], v[23:24]
	v_fma_f64 v[9:10], v[9:10], v[45:46], -v[25:26]
	v_fma_f64 v[13:14], v[13:14], v[41:42], -v[27:28]
	v_add_f64 v[11:12], v[3:4], -v[11:12]
	v_add_f64 v[15:16], v[7:8], -v[15:16]
	v_add_f64 v[9:10], v[1:2], -v[9:10]
	v_add_f64 v[13:14], v[5:6], -v[13:14]
	v_fma_f64 v[17:18], v[3:4], 2.0, -v[11:12]
	v_fma_f64 v[7:8], v[7:8], 2.0, -v[15:16]
	;; [unrolled: 1-line block ×4, first 2 shown]
	v_add_f64 v[3:4], v[11:12], v[13:14]
	v_add_f64 v[1:2], v[9:10], -v[15:16]
	v_add_f64 v[7:8], v[17:18], -v[7:8]
	;; [unrolled: 1-line block ×3, first 2 shown]
	v_fma_f64 v[11:12], v[11:12], 2.0, -v[3:4]
	v_fma_f64 v[9:10], v[9:10], 2.0, -v[1:2]
	;; [unrolled: 1-line block ×3, first 2 shown]
	v_lshlrev_b32_e32 v17, 2, v83
	v_fma_f64 v[13:14], v[19:20], 2.0, -v[5:6]
	v_and_or_b32 v17, v17, s4, v91
	v_lshlrev_b32_e32 v17, 8, v17
	v_add3_u32 v17, 0, v17, v78
	ds_write_b128 v17, v[9:12] offset:512
	ds_write_b128 v17, v[5:8] offset:1024
	ds_write_b128 v17, v[13:16]
	ds_write_b128 v17, v[1:4] offset:1536
.LBB0_6:
	s_or_b64 exec, exec, s[2:3]
	v_mul_u32_u24_e32 v1, 6, v81
	v_lshlrev_b32_e32 v1, 4, v1
	s_waitcnt lgkmcnt(0)
	s_barrier
	global_load_dwordx4 v[5:8], v1, s[8:9] offset:96
	global_load_dwordx4 v[9:12], v1, s[8:9] offset:112
	;; [unrolled: 1-line block ×6, first 2 shown]
	v_lshlrev_b32_e32 v1, 8, v82
	v_add3_u32 v3, 0, v1, v78
	ds_read_b128 v[29:32], v89
	ds_read_b128 v[33:36], v88
	ds_read_b128 v[37:40], v86
	ds_read_b128 v[41:44], v86 offset:6144
	ds_read_b128 v[45:48], v86 offset:10240
	;; [unrolled: 1-line block ×9, first 2 shown]
	ds_read_b128 v[91:94], v3
	v_lshlrev_b32_e32 v2, 8, v79
	v_add3_u32 v4, 0, v2, v78
	ds_read_b128 v[95:98], v4
	s_mov_b32 s4, 0x37e14327
	s_mov_b32 s2, 0x36b3c0b5
	;; [unrolled: 1-line block ×20, first 2 shown]
	s_waitcnt vmcnt(0) lgkmcnt(0)
	s_barrier
	v_mul_f64 v[1:2], v[31:32], v[7:8]
	v_mul_f64 v[99:100], v[29:30], v[7:8]
	;; [unrolled: 1-line block ×13, first 2 shown]
	v_fma_f64 v[1:2], v[29:30], v[5:6], -v[1:2]
	v_fma_f64 v[29:30], v[31:32], v[5:6], v[99:100]
	v_mul_f64 v[7:8], v[41:42], v[7:8]
	v_mul_f64 v[31:32], v[47:48], v[11:12]
	v_fma_f64 v[91:92], v[91:92], v[9:10], -v[101:102]
	v_fma_f64 v[93:94], v[93:94], v[9:10], v[103:104]
	v_mul_f64 v[11:12], v[45:46], v[11:12]
	v_mul_f64 v[99:100], v[51:52], v[15:16]
	;; [unrolled: 1-line block ×3, first 2 shown]
	v_fma_f64 v[61:62], v[61:62], v[21:22], -v[113:114]
	v_fma_f64 v[63:64], v[63:64], v[21:22], v[115:116]
	v_fma_f64 v[69:70], v[69:70], v[25:26], -v[117:118]
	v_fma_f64 v[71:72], v[71:72], v[25:26], v[119:120]
	;; [unrolled: 2-line block ×3, first 2 shown]
	v_mul_f64 v[101:102], v[59:60], v[19:20]
	v_fma_f64 v[53:54], v[53:54], v[17:18], -v[109:110]
	v_fma_f64 v[55:56], v[55:56], v[17:18], v[111:112]
	v_mul_f64 v[19:20], v[57:58], v[19:20]
	v_mul_f64 v[103:104], v[67:68], v[23:24]
	;; [unrolled: 1-line block ×3, first 2 shown]
	v_fma_f64 v[41:42], v[41:42], v[5:6], -v[121:122]
	v_fma_f64 v[43:44], v[43:44], v[5:6], v[7:8]
	v_fma_f64 v[31:32], v[45:46], v[9:10], -v[31:32]
	v_fma_f64 v[45:46], v[47:48], v[9:10], v[11:12]
	;; [unrolled: 2-line block ×3, first 2 shown]
	v_add_f64 v[5:6], v[1:2], v[69:70]
	v_add_f64 v[7:8], v[29:30], v[71:72]
	;; [unrolled: 1-line block ×4, first 2 shown]
	v_fma_f64 v[51:52], v[57:58], v[17:18], -v[101:102]
	v_fma_f64 v[57:58], v[59:60], v[17:18], v[19:20]
	v_fma_f64 v[59:60], v[65:66], v[21:22], -v[103:104]
	v_fma_f64 v[65:66], v[67:68], v[21:22], v[23:24]
	v_add_f64 v[1:2], v[1:2], -v[69:70]
	v_add_f64 v[9:10], v[29:30], -v[71:72]
	;; [unrolled: 1-line block ×4, first 2 shown]
	v_add_f64 v[19:20], v[95:96], v[53:54]
	v_add_f64 v[21:22], v[97:98], v[55:56]
	v_add_f64 v[23:24], v[53:54], -v[95:96]
	v_add_f64 v[29:30], v[55:56], -v[97:98]
	v_add_f64 v[53:54], v[11:12], v[5:6]
	v_add_f64 v[55:56], v[13:14], v[7:8]
	v_add_f64 v[61:62], v[11:12], -v[5:6]
	v_add_f64 v[63:64], v[13:14], -v[7:8]
	;; [unrolled: 1-line block ×6, first 2 shown]
	v_add_f64 v[67:68], v[23:24], v[15:16]
	v_add_f64 v[69:70], v[29:30], v[17:18]
	v_add_f64 v[71:72], v[23:24], -v[15:16]
	v_add_f64 v[91:92], v[29:30], -v[17:18]
	;; [unrolled: 1-line block ×4, first 2 shown]
	v_add_f64 v[19:20], v[19:20], v[53:54]
	v_add_f64 v[21:22], v[21:22], v[55:56]
	v_add_f64 v[23:24], v[1:2], -v[23:24]
	v_add_f64 v[29:30], v[9:10], -v[29:30]
	v_add_f64 v[1:2], v[67:68], v[1:2]
	v_add_f64 v[9:10], v[69:70], v[9:10]
	v_mul_f64 v[53:54], v[5:6], s[4:5]
	v_mul_f64 v[55:56], v[7:8], s[4:5]
	v_mul_f64 v[67:68], v[11:12], s[2:3]
	v_mul_f64 v[69:70], v[13:14], s[2:3]
	v_add_f64 v[5:6], v[37:38], v[19:20]
	v_add_f64 v[7:8], v[39:40], v[21:22]
	v_mul_f64 v[37:38], v[71:72], s[20:21]
	v_mul_f64 v[39:40], v[91:92], s[20:21]
	v_mul_f64 v[71:72], v[15:16], s[6:7]
	v_mul_f64 v[91:92], v[17:18], s[6:7]
	v_mul_f64 v[105:106], v[75:76], v[27:28]
	v_mul_f64 v[27:28], v[73:74], v[27:28]
	v_fma_f64 v[11:12], v[11:12], s[2:3], v[53:54]
	v_fma_f64 v[13:14], v[13:14], s[2:3], v[55:56]
	;; [unrolled: 1-line block ×4, first 2 shown]
	v_fma_f64 v[67:68], v[61:62], s[24:25], -v[67:68]
	v_fma_f64 v[69:70], v[63:64], s[24:25], -v[69:70]
	;; [unrolled: 1-line block ×4, first 2 shown]
	v_fma_f64 v[61:62], v[23:24], s[28:29], v[37:38]
	v_fma_f64 v[63:64], v[29:30], s[28:29], v[39:40]
	v_fma_f64 v[15:16], v[15:16], s[6:7], -v[37:38]
	v_fma_f64 v[23:24], v[23:24], s[34:35], -v[71:72]
	v_fma_f64 v[29:30], v[29:30], s[34:35], -v[91:92]
	v_add_f64 v[69:70], v[69:70], v[21:22]
	v_add_f64 v[53:54], v[53:54], v[19:20]
	;; [unrolled: 1-line block ×3, first 2 shown]
	v_fma_f64 v[61:62], v[1:2], s[30:31], v[61:62]
	v_fma_f64 v[73:74], v[73:74], v[25:26], -v[105:106]
	v_fma_f64 v[75:76], v[75:76], v[25:26], v[27:28]
	v_fma_f64 v[71:72], v[1:2], s[30:31], v[23:24]
	;; [unrolled: 1-line block ×4, first 2 shown]
	v_fma_f64 v[17:18], v[17:18], s[6:7], -v[39:40]
	v_add_f64 v[37:38], v[11:12], v[19:20]
	v_add_f64 v[39:40], v[13:14], v[21:22]
	;; [unrolled: 1-line block ×3, first 2 shown]
	v_fma_f64 v[63:64], v[9:10], s[30:31], v[63:64]
	v_add_f64 v[15:16], v[55:56], -v[71:72]
	v_add_f64 v[13:14], v[29:30], v[53:54]
	v_add_f64 v[19:20], v[1:2], v[69:70]
	v_add_f64 v[23:24], v[69:70], -v[1:2]
	v_add_f64 v[25:26], v[53:54], -v[29:30]
	v_add_f64 v[27:28], v[71:72], v[55:56]
	v_add_f64 v[1:2], v[41:42], v[73:74]
	v_add_f64 v[29:30], v[43:44], v[75:76]
	v_add_f64 v[53:54], v[31:32], v[59:60]
	v_add_f64 v[55:56], v[45:46], v[65:66]
	v_fma_f64 v[21:22], v[9:10], s[30:31], v[17:18]
	v_add_f64 v[31:32], v[31:32], -v[59:60]
	v_add_f64 v[45:46], v[45:46], -v[65:66]
	v_add_f64 v[59:60], v[47:48], v[51:52]
	v_add_f64 v[65:66], v[49:50], v[57:58]
	v_add_f64 v[47:48], v[51:52], -v[47:48]
	v_add_f64 v[49:50], v[57:58], -v[49:50]
	v_add_f64 v[51:52], v[53:54], v[1:2]
	v_add_f64 v[57:58], v[55:56], v[29:30]
	v_add_f64 v[41:42], v[41:42], -v[73:74]
	v_add_f64 v[43:44], v[43:44], -v[75:76]
	v_add_f64 v[17:18], v[67:68], -v[21:22]
	v_add_f64 v[21:22], v[21:22], v[67:68]
	v_add_f64 v[67:68], v[53:54], -v[1:2]
	v_add_f64 v[69:70], v[55:56], -v[29:30]
	;; [unrolled: 1-line block ×6, first 2 shown]
	v_add_f64 v[29:30], v[47:48], v[31:32]
	v_add_f64 v[73:74], v[49:50], v[45:46]
	v_add_f64 v[75:76], v[47:48], -v[31:32]
	v_add_f64 v[91:92], v[49:50], -v[45:46]
	v_add_f64 v[51:52], v[59:60], v[51:52]
	v_add_f64 v[57:58], v[65:66], v[57:58]
	v_add_f64 v[59:60], v[31:32], -v[41:42]
	v_add_f64 v[45:46], v[45:46], -v[43:44]
	;; [unrolled: 1-line block ×4, first 2 shown]
	v_add_f64 v[41:42], v[29:30], v[41:42]
	v_add_f64 v[43:44], v[73:74], v[43:44]
	;; [unrolled: 1-line block ×4, first 2 shown]
	v_mul_f64 v[1:2], v[1:2], s[4:5]
	v_mul_f64 v[33:34], v[71:72], s[4:5]
	;; [unrolled: 1-line block ×8, first 2 shown]
	v_fma_f64 v[51:52], v[51:52], s[22:23], v[29:30]
	v_fma_f64 v[57:58], v[57:58], s[22:23], v[31:32]
	;; [unrolled: 1-line block ×4, first 2 shown]
	v_fma_f64 v[35:36], v[67:68], s[24:25], -v[35:36]
	v_fma_f64 v[65:66], v[69:70], s[24:25], -v[65:66]
	;; [unrolled: 1-line block ×4, first 2 shown]
	v_fma_f64 v[67:68], v[47:48], s[28:29], v[71:72]
	v_fma_f64 v[69:70], v[49:50], s[28:29], v[73:74]
	v_fma_f64 v[47:48], v[47:48], s[34:35], -v[75:76]
	v_fma_f64 v[49:50], v[49:50], s[34:35], -v[91:92]
	;; [unrolled: 1-line block ×4, first 2 shown]
	v_add_f64 v[71:72], v[53:54], v[51:52]
	v_add_f64 v[73:74], v[55:56], v[57:58]
	;; [unrolled: 1-line block ×3, first 2 shown]
	v_fma_f64 v[65:66], v[43:44], s[30:31], v[69:70]
	v_fma_f64 v[67:68], v[41:42], s[30:31], v[67:68]
	v_add_f64 v[1:2], v[1:2], v[51:52]
	v_add_f64 v[57:58], v[33:34], v[57:58]
	v_fma_f64 v[69:70], v[43:44], s[30:31], v[49:50]
	v_fma_f64 v[75:76], v[41:42], s[30:31], v[47:48]
	v_add_f64 v[53:54], v[35:36], v[51:52]
	v_fma_f64 v[49:50], v[43:44], s[30:31], v[45:46]
	v_fma_f64 v[51:52], v[41:42], s[30:31], v[59:60]
	v_add_f64 v[9:10], v[63:64], v[37:38]
	v_add_f64 v[11:12], v[39:40], -v[61:62]
	v_add_f64 v[33:34], v[37:38], -v[63:64]
	v_add_f64 v[35:36], v[61:62], v[39:40]
	v_add_f64 v[37:38], v[65:66], v[71:72]
	v_add_f64 v[39:40], v[73:74], -v[67:68]
	v_add_f64 v[41:42], v[69:70], v[1:2]
	v_add_f64 v[43:44], v[57:58], -v[75:76]
	v_add_f64 v[45:46], v[53:54], -v[49:50]
	v_add_f64 v[47:48], v[51:52], v[55:56]
	v_add_f64 v[49:50], v[49:50], v[53:54]
	v_add_f64 v[53:54], v[1:2], -v[69:70]
	v_lshrrev_b32_e32 v1, 3, v85
	v_add_f64 v[51:52], v[55:56], -v[51:52]
	v_mul_u32_u24_e32 v1, 56, v1
	v_add_f64 v[55:56], v[75:76], v[57:58]
	v_or_b32_e32 v1, v1, v81
	v_add_f64 v[57:58], v[71:72], -v[65:66]
	v_add_f64 v[59:60], v[67:68], v[73:74]
	v_lshlrev_b32_e32 v1, 8, v1
	v_add3_u32 v1, 0, v1, v78
	s_movk_i32 s2, 0x380
	ds_write_b128 v87, v[5:8]
	ds_write_b128 v87, v[9:12] offset:2048
	ds_write_b128 v87, v[13:16] offset:4096
	;; [unrolled: 1-line block ×6, first 2 shown]
	ds_write_b128 v1, v[29:32]
	ds_write_b128 v1, v[37:40] offset:2048
	ds_write_b128 v1, v[41:44] offset:4096
	ds_write_b128 v1, v[45:48] offset:6144
	ds_write_b128 v1, v[49:52] offset:8192
	ds_write_b128 v1, v[53:56] offset:10240
	ds_write_b128 v1, v[57:60] offset:12288
	v_or_b32_e32 v1, 0xffffffc8, v81
	v_cmp_gt_u32_e32 vcc, s2, v0
	v_cndmask_b32_e32 v1, v1, v81, vcc
	v_mov_b32_e32 v2, 0
	v_lshlrev_b64 v[5:6], 4, v[1:2]
	v_mov_b32_e32 v33, s9
	v_add_co_u32_e32 v13, vcc, s8, v5
	v_addc_co_u32_e32 v14, vcc, v33, v6, vcc
	s_movk_i32 s2, 0x300
	v_or_b32_e32 v5, 0xffffffd0, v81
	v_cmp_gt_u32_e32 vcc, s2, v0
	v_cndmask_b32_e32 v99, v5, v85, vcc
	v_mov_b32_e32 v100, v2
	v_lshlrev_b64 v[5:6], 4, v[99:100]
	s_movk_i32 s2, 0x280
	v_add_co_u32_e32 v15, vcc, s8, v5
	v_addc_co_u32_e32 v16, vcc, v33, v6, vcc
	s_waitcnt lgkmcnt(0)
	s_barrier
	global_load_dwordx4 v[5:8], v[13:14], off offset:864
	global_load_dwordx4 v[9:12], v[15:16], off offset:864
	v_or_b32_e32 v13, 0xffffffd8, v81
	v_cmp_gt_u32_e32 vcc, s2, v0
	v_cndmask_b32_e32 v100, v13, v84, vcc
	v_mov_b32_e32 v101, v2
	v_lshlrev_b64 v[13:14], 4, v[100:101]
	s_movk_i32 s2, 0x200
	v_add_co_u32_e32 v21, vcc, s8, v13
	v_addc_co_u32_e32 v22, vcc, v33, v14, vcc
	v_or_b32_e32 v13, 0xffffffe0, v81
	v_cmp_gt_u32_e32 vcc, s2, v0
	v_cndmask_b32_e32 v101, v13, v83, vcc
	v_mov_b32_e32 v102, v2
	v_lshlrev_b64 v[13:14], 4, v[101:102]
	s_movk_i32 s2, 0x180
	v_add_co_u32_e32 v23, vcc, s8, v13
	v_addc_co_u32_e32 v24, vcc, v33, v14, vcc
	global_load_dwordx4 v[13:16], v[21:22], off offset:864
	global_load_dwordx4 v[17:20], v[23:24], off offset:864
	v_or_b32_e32 v21, 0xffffffe8, v81
	v_cmp_gt_u32_e32 vcc, s2, v0
	v_cndmask_b32_e32 v102, v21, v82, vcc
	v_mov_b32_e32 v103, v2
	v_lshlrev_b64 v[21:22], 4, v[102:103]
	s_movk_i32 s2, 0x100
	v_add_co_u32_e32 v29, vcc, s8, v21
	v_addc_co_u32_e32 v30, vcc, v33, v22, vcc
	v_or_b32_e32 v21, -16, v81
	v_cmp_gt_u32_e32 vcc, s2, v0
	v_cndmask_b32_e32 v103, v21, v80, vcc
	v_mov_b32_e32 v104, v2
	v_lshlrev_b64 v[21:22], 4, v[103:104]
	s_movk_i32 s2, 0x80
	v_add_co_u32_e32 v31, vcc, s8, v21
	v_addc_co_u32_e32 v32, vcc, v33, v22, vcc
	global_load_dwordx4 v[21:24], v[29:30], off offset:864
	global_load_dwordx4 v[25:28], v[31:32], off offset:864
	v_or_b32_e32 v29, -8, v81
	v_cmp_gt_u32_e32 vcc, s2, v0
	v_cndmask_b32_e32 v104, v29, v79, vcc
	v_mov_b32_e32 v105, v2
	v_lshlrev_b64 v[29:30], 4, v[104:105]
	v_lshlrev_b32_e32 v66, 8, v80
	v_add_co_u32_e32 v29, vcc, s8, v29
	v_addc_co_u32_e32 v30, vcc, v33, v30, vcc
	global_load_dwordx4 v[29:32], v[29:30], off offset:864
	ds_read_b128 v[33:36], v86
	ds_read_b128 v[37:40], v86 offset:14336
	ds_read_b128 v[41:44], v88
	ds_read_b128 v[45:48], v89
	ds_read_b128 v[49:52], v86 offset:16384
	ds_read_b128 v[53:56], v86 offset:18432
	v_add3_u32 v65, 0, v90, v78
	v_add3_u32 v69, 0, v66, v78
	ds_read_b128 v[57:60], v86 offset:20480
	ds_read_b128 v[61:64], v86 offset:22528
	ds_read_b128 v[65:68], v65
	ds_read_b128 v[69:72], v69
	;; [unrolled: 1-line block ×4, first 2 shown]
	ds_read_b128 v[91:94], v86 offset:24576
	ds_read_b128 v[95:98], v86 offset:26624
	s_mul_i32 s2, s17, s10
	s_mul_hi_u32 s3, s16, s10
	s_add_i32 s3, s3, s2
	s_mul_i32 s2, s16, s10
	s_mul_i32 s4, s13, s11
	s_mul_hi_u32 s5, s12, s11
	s_mul_i32 s6, s19, s33
	s_mul_hi_u32 s7, s18, s33
	s_add_i32 s5, s5, s4
	s_add_i32 s7, s7, s6
	s_lshl_b64 s[2:3], s[2:3], 4
	s_mul_i32 s4, s12, s11
	s_add_u32 s2, s0, s2
	s_addc_u32 s3, s1, s3
	s_lshl_b64 s[0:1], s[4:5], 4
	s_mul_i32 s6, s18, s33
	s_add_u32 s2, s2, s0
	s_addc_u32 s3, s3, s1
	s_lshl_b64 s[0:1], s[6:7], 4
	s_waitcnt vmcnt(6) lgkmcnt(12)
	v_mul_f64 v[3:4], v[39:40], v[7:8]
	v_mul_f64 v[7:8], v[37:38], v[7:8]
	s_waitcnt vmcnt(5) lgkmcnt(9)
	v_mul_f64 v[105:106], v[51:52], v[11:12]
	v_mul_f64 v[11:12], v[49:50], v[11:12]
	s_add_u32 s0, s0, s2
	s_addc_u32 s1, s1, s3
	v_fma_f64 v[3:4], v[37:38], v[5:6], -v[3:4]
	v_fma_f64 v[5:6], v[39:40], v[5:6], v[7:8]
	v_fma_f64 v[7:8], v[49:50], v[9:10], -v[105:106]
	v_fma_f64 v[9:10], v[51:52], v[9:10], v[11:12]
	v_add_f64 v[3:4], v[33:34], -v[3:4]
	v_add_f64 v[5:6], v[35:36], -v[5:6]
	;; [unrolled: 1-line block ×4, first 2 shown]
	s_waitcnt vmcnt(4) lgkmcnt(8)
	v_mul_f64 v[107:108], v[55:56], v[15:16]
	s_waitcnt vmcnt(3) lgkmcnt(7)
	v_mul_f64 v[37:38], v[59:60], v[19:20]
	v_mul_f64 v[15:16], v[53:54], v[15:16]
	;; [unrolled: 1-line block ×3, first 2 shown]
	v_fma_f64 v[39:40], v[53:54], v[13:14], -v[107:108]
	v_fma_f64 v[19:20], v[57:58], v[17:18], -v[37:38]
	v_fma_f64 v[13:14], v[55:56], v[13:14], v[15:16]
	v_fma_f64 v[51:52], v[59:60], v[17:18], v[11:12]
	v_fma_f64 v[11:12], v[33:34], 2.0, -v[3:4]
	s_waitcnt lgkmcnt(5)
	v_add_f64 v[19:20], v[65:66], -v[19:20]
	v_add_f64 v[17:18], v[47:48], -v[13:14]
	v_fma_f64 v[13:14], v[35:36], 2.0, -v[5:6]
	s_waitcnt vmcnt(2)
	v_mul_f64 v[15:16], v[63:64], v[23:24]
	s_waitcnt vmcnt(1) lgkmcnt(1)
	v_mul_f64 v[37:38], v[93:94], v[27:28]
	v_mul_f64 v[27:28], v[91:92], v[27:28]
	;; [unrolled: 1-line block ×3, first 2 shown]
	v_fma_f64 v[35:36], v[65:66], 2.0, -v[19:20]
	v_fma_f64 v[33:34], v[47:48], 2.0, -v[17:18]
	v_fma_f64 v[53:54], v[61:62], v[21:22], -v[15:16]
	v_fma_f64 v[57:58], v[91:92], v[25:26], -v[37:38]
	v_fma_f64 v[59:60], v[93:94], v[25:26], v[27:28]
	v_fma_f64 v[55:56], v[63:64], v[21:22], v[23:24]
	s_waitcnt vmcnt(0) lgkmcnt(0)
	v_mul_f64 v[49:50], v[97:98], v[31:32]
	v_mul_f64 v[31:32], v[95:96], v[31:32]
	v_fma_f64 v[23:24], v[41:42], 2.0, -v[7:8]
	v_add_f64 v[15:16], v[45:46], -v[39:40]
	v_add_f64 v[27:28], v[73:74], -v[53:54]
	v_fma_f64 v[25:26], v[43:44], 2.0, -v[9:10]
	v_add_f64 v[41:42], v[71:72], -v[59:60]
	v_mad_u64_u32 v[59:60], s[8:9], s12, v77, 0
	v_fma_f64 v[49:50], v[95:96], v[29:30], -v[49:50]
	v_fma_f64 v[61:62], v[97:98], v[29:30], v[31:32]
	v_mov_b32_e32 v53, v60
	v_add_f64 v[21:22], v[67:68], -v[51:52]
	v_fma_f64 v[31:32], v[45:46], 2.0, -v[15:16]
	v_add_f64 v[29:30], v[75:76], -v[55:56]
	v_add_f64 v[39:40], v[69:70], -v[57:58]
	v_fma_f64 v[43:44], v[73:74], 2.0, -v[27:28]
	v_add_f64 v[47:48], v[87:88], -v[49:50]
	v_add_f64 v[49:50], v[89:90], -v[61:62]
	v_mad_u64_u32 v[60:61], s[8:9], s13, v77, v[53:54]
	s_movk_i32 s8, 0x37f
	v_mov_b32_e32 v61, 0x70
	v_cmp_lt_u32_e32 vcc, s8, v0
	v_cndmask_b32_e32 v0, 0, v61, vcc
	v_add_u32_e32 v0, v1, v0
	v_mul_lo_u32 v1, v0, s14
	v_lshlrev_b64 v[59:60], 4, v[59:60]
	v_mov_b32_e32 v0, s1
	v_add_co_u32_e32 v61, vcc, s0, v59
	v_addc_co_u32_e32 v62, vcc, v0, v60, vcc
	v_lshlrev_b64 v[59:60], 4, v[1:2]
	s_mul_i32 s0, s14, 56
	v_add_co_u32_e32 v59, vcc, v61, v59
	v_sub_u32_e32 v0, v85, v99
	v_addc_co_u32_e32 v60, vcc, v62, v60, vcc
	v_add_u32_e32 v1, s0, v1
	v_add_u32_e32 v0, v0, v85
	global_store_dwordx4 v[59:60], v[11:14], off
	v_fma_f64 v[37:38], v[67:68], 2.0, -v[21:22]
	v_lshlrev_b64 v[11:12], 4, v[1:2]
	v_mul_lo_u32 v1, v0, s14
	v_add_co_u32_e32 v11, vcc, v61, v11
	v_addc_co_u32_e32 v12, vcc, v62, v12, vcc
	global_store_dwordx4 v[11:12], v[3:6], off
	v_sub_u32_e32 v0, v84, v100
	v_lshlrev_b64 v[3:4], 4, v[1:2]
	v_add_u32_e32 v1, s0, v1
	v_add_co_u32_e32 v3, vcc, v61, v3
	v_addc_co_u32_e32 v4, vcc, v62, v4, vcc
	v_add_u32_e32 v0, v0, v84
	global_store_dwordx4 v[3:4], v[23:26], off
	v_lshlrev_b64 v[3:4], 4, v[1:2]
	v_mul_lo_u32 v1, v0, s14
	v_add_co_u32_e32 v3, vcc, v61, v3
	v_addc_co_u32_e32 v4, vcc, v62, v4, vcc
	global_store_dwordx4 v[3:4], v[7:10], off
	v_lshlrev_b64 v[3:4], 4, v[1:2]
	v_sub_u32_e32 v0, v83, v101
	v_add_co_u32_e32 v3, vcc, v61, v3
	v_addc_co_u32_e32 v4, vcc, v62, v4, vcc
	v_add_u32_e32 v1, s0, v1
	v_add_u32_e32 v0, v0, v83
	global_store_dwordx4 v[3:4], v[31:34], off
	v_lshlrev_b64 v[3:4], 4, v[1:2]
	v_mul_lo_u32 v1, v0, s14
	v_add_co_u32_e32 v3, vcc, v61, v3
	v_addc_co_u32_e32 v4, vcc, v62, v4, vcc
	global_store_dwordx4 v[3:4], v[15:18], off
	v_lshlrev_b64 v[3:4], 4, v[1:2]
	v_sub_u32_e32 v0, v82, v102
	v_add_co_u32_e32 v3, vcc, v61, v3
	v_addc_co_u32_e32 v4, vcc, v62, v4, vcc
	v_add_u32_e32 v1, s0, v1
	v_add_u32_e32 v0, v0, v82
	v_fma_f64 v[45:46], v[75:76], 2.0, -v[29:30]
	global_store_dwordx4 v[3:4], v[35:38], off
	v_lshlrev_b64 v[3:4], 4, v[1:2]
	v_mul_lo_u32 v1, v0, s14
	v_add_co_u32_e32 v3, vcc, v61, v3
	v_addc_co_u32_e32 v4, vcc, v62, v4, vcc
	global_store_dwordx4 v[3:4], v[19:22], off
	v_lshlrev_b64 v[3:4], 4, v[1:2]
	v_sub_u32_e32 v0, v80, v103
	v_add_co_u32_e32 v3, vcc, v61, v3
	v_addc_co_u32_e32 v4, vcc, v62, v4, vcc
	v_add_u32_e32 v1, s0, v1
	v_add_u32_e32 v0, v0, v80
	v_fma_f64 v[51:52], v[69:70], 2.0, -v[39:40]
	v_fma_f64 v[53:54], v[71:72], 2.0, -v[41:42]
	global_store_dwordx4 v[3:4], v[43:46], off
	v_lshlrev_b64 v[3:4], 4, v[1:2]
	v_mul_lo_u32 v1, v0, s14
	v_add_co_u32_e32 v3, vcc, v61, v3
	v_addc_co_u32_e32 v4, vcc, v62, v4, vcc
	global_store_dwordx4 v[3:4], v[27:30], off
	v_lshlrev_b64 v[3:4], 4, v[1:2]
	v_sub_u32_e32 v0, v79, v104
	v_add_co_u32_e32 v3, vcc, v61, v3
	v_addc_co_u32_e32 v4, vcc, v62, v4, vcc
	v_add_u32_e32 v1, s0, v1
	v_add_u32_e32 v0, v0, v79
	global_store_dwordx4 v[3:4], v[51:54], off
	v_lshlrev_b64 v[3:4], 4, v[1:2]
	v_mul_lo_u32 v1, v0, s14
	v_fma_f64 v[55:56], v[87:88], 2.0, -v[47:48]
	v_fma_f64 v[57:58], v[89:90], 2.0, -v[49:50]
	v_add_co_u32_e32 v3, vcc, v61, v3
	v_addc_co_u32_e32 v4, vcc, v62, v4, vcc
	global_store_dwordx4 v[3:4], v[39:42], off
	v_lshlrev_b64 v[3:4], 4, v[1:2]
	v_add_u32_e32 v1, s0, v1
	v_add_co_u32_e32 v3, vcc, v61, v3
	v_lshlrev_b64 v[0:1], 4, v[1:2]
	v_addc_co_u32_e32 v4, vcc, v62, v4, vcc
	v_add_co_u32_e32 v0, vcc, v61, v0
	v_addc_co_u32_e32 v1, vcc, v62, v1, vcc
	global_store_dwordx4 v[3:4], v[55:58], off
	global_store_dwordx4 v[0:1], v[47:50], off
	s_endpgm
	.section	.rodata,"a",@progbits
	.p2align	6, 0x0
	.amdhsa_kernel fft_rtc_fwd_len112_factors_2_4_7_2_wgs_128_tpt_8_dim3_dp_op_CI_CI_sbrc_aligned_dirReg
		.amdhsa_group_segment_fixed_size 0
		.amdhsa_private_segment_fixed_size 0
		.amdhsa_kernarg_size 96
		.amdhsa_user_sgpr_count 6
		.amdhsa_user_sgpr_private_segment_buffer 1
		.amdhsa_user_sgpr_dispatch_ptr 0
		.amdhsa_user_sgpr_queue_ptr 0
		.amdhsa_user_sgpr_kernarg_segment_ptr 1
		.amdhsa_user_sgpr_dispatch_id 0
		.amdhsa_user_sgpr_flat_scratch_init 0
		.amdhsa_user_sgpr_private_segment_size 0
		.amdhsa_uses_dynamic_stack 0
		.amdhsa_system_sgpr_private_segment_wavefront_offset 0
		.amdhsa_system_sgpr_workgroup_id_x 1
		.amdhsa_system_sgpr_workgroup_id_y 0
		.amdhsa_system_sgpr_workgroup_id_z 0
		.amdhsa_system_sgpr_workgroup_info 0
		.amdhsa_system_vgpr_workitem_id 0
		.amdhsa_next_free_vgpr 123
		.amdhsa_next_free_sgpr 36
		.amdhsa_reserve_vcc 1
		.amdhsa_reserve_flat_scratch 0
		.amdhsa_float_round_mode_32 0
		.amdhsa_float_round_mode_16_64 0
		.amdhsa_float_denorm_mode_32 3
		.amdhsa_float_denorm_mode_16_64 3
		.amdhsa_dx10_clamp 1
		.amdhsa_ieee_mode 1
		.amdhsa_fp16_overflow 0
		.amdhsa_exception_fp_ieee_invalid_op 0
		.amdhsa_exception_fp_denorm_src 0
		.amdhsa_exception_fp_ieee_div_zero 0
		.amdhsa_exception_fp_ieee_overflow 0
		.amdhsa_exception_fp_ieee_underflow 0
		.amdhsa_exception_fp_ieee_inexact 0
		.amdhsa_exception_int_div_zero 0
	.end_amdhsa_kernel
	.text
.Lfunc_end0:
	.size	fft_rtc_fwd_len112_factors_2_4_7_2_wgs_128_tpt_8_dim3_dp_op_CI_CI_sbrc_aligned_dirReg, .Lfunc_end0-fft_rtc_fwd_len112_factors_2_4_7_2_wgs_128_tpt_8_dim3_dp_op_CI_CI_sbrc_aligned_dirReg
                                        ; -- End function
	.section	.AMDGPU.csdata,"",@progbits
; Kernel info:
; codeLenInByte = 8140
; NumSgprs: 40
; NumVgprs: 123
; ScratchSize: 0
; MemoryBound: 0
; FloatMode: 240
; IeeeMode: 1
; LDSByteSize: 0 bytes/workgroup (compile time only)
; SGPRBlocks: 4
; VGPRBlocks: 30
; NumSGPRsForWavesPerEU: 40
; NumVGPRsForWavesPerEU: 123
; Occupancy: 2
; WaveLimiterHint : 1
; COMPUTE_PGM_RSRC2:SCRATCH_EN: 0
; COMPUTE_PGM_RSRC2:USER_SGPR: 6
; COMPUTE_PGM_RSRC2:TRAP_HANDLER: 0
; COMPUTE_PGM_RSRC2:TGID_X_EN: 1
; COMPUTE_PGM_RSRC2:TGID_Y_EN: 0
; COMPUTE_PGM_RSRC2:TGID_Z_EN: 0
; COMPUTE_PGM_RSRC2:TIDIG_COMP_CNT: 0
	.type	__hip_cuid_12b7c064aa81fc97,@object ; @__hip_cuid_12b7c064aa81fc97
	.section	.bss,"aw",@nobits
	.globl	__hip_cuid_12b7c064aa81fc97
__hip_cuid_12b7c064aa81fc97:
	.byte	0                               ; 0x0
	.size	__hip_cuid_12b7c064aa81fc97, 1

	.ident	"AMD clang version 19.0.0git (https://github.com/RadeonOpenCompute/llvm-project roc-6.4.0 25133 c7fe45cf4b819c5991fe208aaa96edf142730f1d)"
	.section	".note.GNU-stack","",@progbits
	.addrsig
	.addrsig_sym __hip_cuid_12b7c064aa81fc97
	.amdgpu_metadata
---
amdhsa.kernels:
  - .args:
      - .actual_access:  read_only
        .address_space:  global
        .offset:         0
        .size:           8
        .value_kind:     global_buffer
      - .actual_access:  read_only
        .address_space:  global
        .offset:         8
        .size:           8
        .value_kind:     global_buffer
      - .actual_access:  read_only
        .address_space:  global
        .offset:         16
        .size:           8
        .value_kind:     global_buffer
      - .actual_access:  read_only
        .address_space:  global
        .offset:         24
        .size:           8
        .value_kind:     global_buffer
      - .offset:         32
        .size:           8
        .value_kind:     by_value
      - .actual_access:  read_only
        .address_space:  global
        .offset:         40
        .size:           8
        .value_kind:     global_buffer
      - .actual_access:  read_only
        .address_space:  global
        .offset:         48
        .size:           8
        .value_kind:     global_buffer
      - .offset:         56
        .size:           4
        .value_kind:     by_value
      - .actual_access:  read_only
        .address_space:  global
        .offset:         64
        .size:           8
        .value_kind:     global_buffer
      - .actual_access:  read_only
        .address_space:  global
        .offset:         72
        .size:           8
        .value_kind:     global_buffer
      - .actual_access:  read_only
        .address_space:  global
        .offset:         80
        .size:           8
        .value_kind:     global_buffer
      - .actual_access:  write_only
        .address_space:  global
        .offset:         88
        .size:           8
        .value_kind:     global_buffer
    .group_segment_fixed_size: 0
    .kernarg_segment_align: 8
    .kernarg_segment_size: 96
    .language:       OpenCL C
    .language_version:
      - 2
      - 0
    .max_flat_workgroup_size: 128
    .name:           fft_rtc_fwd_len112_factors_2_4_7_2_wgs_128_tpt_8_dim3_dp_op_CI_CI_sbrc_aligned_dirReg
    .private_segment_fixed_size: 0
    .sgpr_count:     40
    .sgpr_spill_count: 0
    .symbol:         fft_rtc_fwd_len112_factors_2_4_7_2_wgs_128_tpt_8_dim3_dp_op_CI_CI_sbrc_aligned_dirReg.kd
    .uniform_work_group_size: 1
    .uses_dynamic_stack: false
    .vgpr_count:     123
    .vgpr_spill_count: 0
    .wavefront_size: 64
amdhsa.target:   amdgcn-amd-amdhsa--gfx906
amdhsa.version:
  - 1
  - 2
...

	.end_amdgpu_metadata
